;; amdgpu-corpus repo=ROCm/rocFFT kind=compiled arch=gfx950 opt=O3
	.text
	.amdgcn_target "amdgcn-amd-amdhsa--gfx950"
	.amdhsa_code_object_version 6
	.protected	fft_rtc_back_len1584_factors_4_2_2_11_3_3_wgs_176_tpt_176_halfLds_dp_ip_CI_unitstride_sbrr_dirReg ; -- Begin function fft_rtc_back_len1584_factors_4_2_2_11_3_3_wgs_176_tpt_176_halfLds_dp_ip_CI_unitstride_sbrr_dirReg
	.globl	fft_rtc_back_len1584_factors_4_2_2_11_3_3_wgs_176_tpt_176_halfLds_dp_ip_CI_unitstride_sbrr_dirReg
	.p2align	8
	.type	fft_rtc_back_len1584_factors_4_2_2_11_3_3_wgs_176_tpt_176_halfLds_dp_ip_CI_unitstride_sbrr_dirReg,@function
fft_rtc_back_len1584_factors_4_2_2_11_3_3_wgs_176_tpt_176_halfLds_dp_ip_CI_unitstride_sbrr_dirReg: ; @fft_rtc_back_len1584_factors_4_2_2_11_3_3_wgs_176_tpt_176_halfLds_dp_ip_CI_unitstride_sbrr_dirReg
; %bb.0:
	s_load_dwordx2 s[8:9], s[0:1], 0x50
	s_load_dwordx4 s[4:7], s[0:1], 0x0
	s_load_dwordx2 s[10:11], s[0:1], 0x18
	v_mul_u32_u24_e32 v1, 0x175, v0
	v_add_u32_sdwa v6, s2, v1 dst_sel:DWORD dst_unused:UNUSED_PAD src0_sel:DWORD src1_sel:WORD_1
	v_mov_b32_e32 v4, 0
	s_waitcnt lgkmcnt(0)
	v_cmp_lt_u64_e64 s[2:3], s[6:7], 2
	v_mov_b32_e32 v7, v4
	s_and_b64 vcc, exec, s[2:3]
	v_mov_b64_e32 v[2:3], 0
	s_cbranch_vccnz .LBB0_8
; %bb.1:
	s_load_dwordx2 s[2:3], s[0:1], 0x10
	s_add_u32 s12, s10, 8
	s_addc_u32 s13, s11, 0
	s_mov_b64 s[14:15], 1
	v_mov_b64_e32 v[2:3], 0
	s_waitcnt lgkmcnt(0)
	s_add_u32 s16, s2, 8
	s_addc_u32 s17, s3, 0
.LBB0_2:                                ; =>This Inner Loop Header: Depth=1
	s_load_dwordx2 s[18:19], s[16:17], 0x0
                                        ; implicit-def: $vgpr8_vgpr9
	s_waitcnt lgkmcnt(0)
	v_or_b32_e32 v5, s19, v7
	v_cmp_ne_u64_e32 vcc, 0, v[4:5]
	s_and_saveexec_b64 s[2:3], vcc
	s_xor_b64 s[20:21], exec, s[2:3]
	s_cbranch_execz .LBB0_4
; %bb.3:                                ;   in Loop: Header=BB0_2 Depth=1
	v_cvt_f32_u32_e32 v1, s18
	v_cvt_f32_u32_e32 v5, s19
	s_sub_u32 s2, 0, s18
	s_subb_u32 s3, 0, s19
	v_fmac_f32_e32 v1, 0x4f800000, v5
	v_rcp_f32_e32 v1, v1
	s_nop 0
	v_mul_f32_e32 v1, 0x5f7ffffc, v1
	v_mul_f32_e32 v5, 0x2f800000, v1
	v_trunc_f32_e32 v5, v5
	v_fmac_f32_e32 v1, 0xcf800000, v5
	v_cvt_u32_f32_e32 v5, v5
	v_cvt_u32_f32_e32 v1, v1
	v_mul_lo_u32 v8, s2, v5
	v_mul_hi_u32 v10, s2, v1
	v_mul_lo_u32 v9, s3, v1
	v_add_u32_e32 v10, v10, v8
	v_mul_lo_u32 v12, s2, v1
	v_add_u32_e32 v13, v10, v9
	v_mul_hi_u32 v8, v1, v12
	v_mul_hi_u32 v11, v1, v13
	v_mul_lo_u32 v10, v1, v13
	v_mov_b32_e32 v9, v4
	v_lshl_add_u64 v[8:9], v[8:9], 0, v[10:11]
	v_mul_hi_u32 v11, v5, v12
	v_mul_lo_u32 v12, v5, v12
	v_add_co_u32_e32 v8, vcc, v8, v12
	v_mul_hi_u32 v10, v5, v13
	s_nop 0
	v_addc_co_u32_e32 v8, vcc, v9, v11, vcc
	v_mov_b32_e32 v9, v4
	s_nop 0
	v_addc_co_u32_e32 v11, vcc, 0, v10, vcc
	v_mul_lo_u32 v10, v5, v13
	v_lshl_add_u64 v[8:9], v[8:9], 0, v[10:11]
	v_add_co_u32_e32 v1, vcc, v1, v8
	v_mul_lo_u32 v10, s2, v1
	s_nop 0
	v_addc_co_u32_e32 v5, vcc, v5, v9, vcc
	v_mul_lo_u32 v8, s2, v5
	v_mul_hi_u32 v9, s2, v1
	v_add_u32_e32 v8, v9, v8
	v_mul_lo_u32 v9, s3, v1
	v_add_u32_e32 v12, v8, v9
	v_mul_hi_u32 v14, v5, v10
	v_mul_lo_u32 v15, v5, v10
	v_mul_hi_u32 v9, v1, v12
	v_mul_lo_u32 v8, v1, v12
	v_mul_hi_u32 v10, v1, v10
	v_mov_b32_e32 v11, v4
	v_lshl_add_u64 v[8:9], v[10:11], 0, v[8:9]
	v_add_co_u32_e32 v8, vcc, v8, v15
	v_mul_hi_u32 v13, v5, v12
	s_nop 0
	v_addc_co_u32_e32 v8, vcc, v9, v14, vcc
	v_mul_lo_u32 v10, v5, v12
	s_nop 0
	v_addc_co_u32_e32 v11, vcc, 0, v13, vcc
	v_mov_b32_e32 v9, v4
	v_lshl_add_u64 v[8:9], v[8:9], 0, v[10:11]
	v_add_co_u32_e32 v1, vcc, v1, v8
	v_mul_hi_u32 v10, v6, v1
	s_nop 0
	v_addc_co_u32_e32 v5, vcc, v5, v9, vcc
	v_mad_u64_u32 v[8:9], s[2:3], v6, v5, 0
	v_mov_b32_e32 v11, v4
	v_lshl_add_u64 v[8:9], v[10:11], 0, v[8:9]
	v_mad_u64_u32 v[12:13], s[2:3], v7, v1, 0
	v_add_co_u32_e32 v1, vcc, v8, v12
	v_mad_u64_u32 v[10:11], s[2:3], v7, v5, 0
	s_nop 0
	v_addc_co_u32_e32 v8, vcc, v9, v13, vcc
	v_mov_b32_e32 v9, v4
	s_nop 0
	v_addc_co_u32_e32 v11, vcc, 0, v11, vcc
	v_lshl_add_u64 v[8:9], v[8:9], 0, v[10:11]
	v_mul_lo_u32 v1, s19, v8
	v_mul_lo_u32 v5, s18, v9
	v_mad_u64_u32 v[10:11], s[2:3], s18, v8, 0
	v_add3_u32 v1, v11, v5, v1
	v_sub_u32_e32 v5, v7, v1
	v_mov_b32_e32 v11, s19
	v_sub_co_u32_e32 v14, vcc, v6, v10
	v_lshl_add_u64 v[12:13], v[8:9], 0, 1
	s_nop 0
	v_subb_co_u32_e64 v5, s[2:3], v5, v11, vcc
	v_subrev_co_u32_e64 v10, s[2:3], s18, v14
	v_subb_co_u32_e32 v1, vcc, v7, v1, vcc
	s_nop 0
	v_subbrev_co_u32_e64 v5, s[2:3], 0, v5, s[2:3]
	v_cmp_le_u32_e64 s[2:3], s19, v5
	v_cmp_le_u32_e32 vcc, s19, v1
	s_nop 0
	v_cndmask_b32_e64 v11, 0, -1, s[2:3]
	v_cmp_le_u32_e64 s[2:3], s18, v10
	s_nop 1
	v_cndmask_b32_e64 v10, 0, -1, s[2:3]
	v_cmp_eq_u32_e64 s[2:3], s19, v5
	s_nop 1
	v_cndmask_b32_e64 v5, v11, v10, s[2:3]
	v_lshl_add_u64 v[10:11], v[8:9], 0, 2
	v_cmp_ne_u32_e64 s[2:3], 0, v5
	s_nop 1
	v_cndmask_b32_e64 v5, v13, v11, s[2:3]
	v_cndmask_b32_e64 v11, 0, -1, vcc
	v_cmp_le_u32_e32 vcc, s18, v14
	s_nop 1
	v_cndmask_b32_e64 v13, 0, -1, vcc
	v_cmp_eq_u32_e32 vcc, s19, v1
	s_nop 1
	v_cndmask_b32_e32 v1, v11, v13, vcc
	v_cmp_ne_u32_e32 vcc, 0, v1
	v_cndmask_b32_e64 v1, v12, v10, s[2:3]
	s_nop 0
	v_cndmask_b32_e32 v9, v9, v5, vcc
	v_cndmask_b32_e32 v8, v8, v1, vcc
.LBB0_4:                                ;   in Loop: Header=BB0_2 Depth=1
	s_andn2_saveexec_b64 s[2:3], s[20:21]
	s_cbranch_execz .LBB0_6
; %bb.5:                                ;   in Loop: Header=BB0_2 Depth=1
	v_cvt_f32_u32_e32 v1, s18
	s_sub_i32 s20, 0, s18
	v_rcp_iflag_f32_e32 v1, v1
	s_nop 0
	v_mul_f32_e32 v1, 0x4f7ffffe, v1
	v_cvt_u32_f32_e32 v1, v1
	v_mul_lo_u32 v5, s20, v1
	v_mul_hi_u32 v5, v1, v5
	v_add_u32_e32 v1, v1, v5
	v_mul_hi_u32 v1, v6, v1
	v_mul_lo_u32 v5, v1, s18
	v_sub_u32_e32 v5, v6, v5
	v_add_u32_e32 v8, 1, v1
	v_subrev_u32_e32 v9, s18, v5
	v_cmp_le_u32_e32 vcc, s18, v5
	s_nop 1
	v_cndmask_b32_e32 v5, v5, v9, vcc
	v_cndmask_b32_e32 v1, v1, v8, vcc
	v_add_u32_e32 v8, 1, v1
	v_cmp_le_u32_e32 vcc, s18, v5
	v_mov_b32_e32 v9, v4
	s_nop 0
	v_cndmask_b32_e32 v8, v1, v8, vcc
.LBB0_6:                                ;   in Loop: Header=BB0_2 Depth=1
	s_or_b64 exec, exec, s[2:3]
	v_mad_u64_u32 v[10:11], s[2:3], v8, s18, 0
	s_load_dwordx2 s[2:3], s[12:13], 0x0
	v_mul_lo_u32 v1, v9, s18
	v_mul_lo_u32 v5, v8, s19
	v_add3_u32 v1, v11, v5, v1
	v_sub_co_u32_e32 v5, vcc, v6, v10
	s_add_u32 s14, s14, 1
	s_nop 0
	v_subb_co_u32_e32 v1, vcc, v7, v1, vcc
	s_addc_u32 s15, s15, 0
	s_waitcnt lgkmcnt(0)
	v_mul_lo_u32 v1, s2, v1
	v_mul_lo_u32 v6, s3, v5
	v_mad_u64_u32 v[2:3], s[2:3], s2, v5, v[2:3]
	s_add_u32 s12, s12, 8
	v_add3_u32 v3, v6, v3, v1
	s_addc_u32 s13, s13, 0
	v_mov_b64_e32 v[6:7], s[6:7]
	s_add_u32 s16, s16, 8
	v_cmp_ge_u64_e32 vcc, s[14:15], v[6:7]
	s_addc_u32 s17, s17, 0
	s_cbranch_vccnz .LBB0_9
; %bb.7:                                ;   in Loop: Header=BB0_2 Depth=1
	v_mov_b64_e32 v[6:7], v[8:9]
	s_branch .LBB0_2
.LBB0_8:
	v_mov_b64_e32 v[8:9], v[6:7]
.LBB0_9:
	s_lshl_b64 s[2:3], s[6:7], 3
	s_add_u32 s2, s10, s2
	s_addc_u32 s3, s11, s3
	s_load_dwordx2 s[6:7], s[2:3], 0x0
	s_load_dwordx2 s[10:11], s[0:1], 0x20
	s_mov_b32 s2, 0x1745d18
                                        ; implicit-def: $vgpr24_vgpr25
                                        ; implicit-def: $vgpr16_vgpr17
                                        ; implicit-def: $vgpr32_vgpr33
                                        ; implicit-def: $vgpr36_vgpr37
                                        ; implicit-def: $vgpr48_vgpr49
                                        ; implicit-def: $vgpr28_vgpr29
                                        ; implicit-def: $vgpr40_vgpr41
                                        ; implicit-def: $vgpr12_vgpr13
                                        ; implicit-def: $vgpr44_vgpr45
                                        ; implicit-def: $vgpr20_vgpr21
	s_waitcnt lgkmcnt(0)
	v_mul_lo_u32 v1, s6, v9
	v_mul_lo_u32 v4, s7, v8
	v_mad_u64_u32 v[2:3], s[0:1], s6, v8, v[2:3]
	v_add3_u32 v3, v4, v3, v1
	v_mul_hi_u32 v1, v0, s2
	v_mul_u32_u24_e32 v1, 0xb0, v1
	v_cmp_gt_u64_e64 s[0:1], s[10:11], v[8:9]
	v_sub_u32_e32 v64, v0, v1
	v_lshl_add_u64 v[62:63], v[2:3], 4, s[8:9]
                                        ; implicit-def: $vgpr4_vgpr5
                                        ; implicit-def: $vgpr8_vgpr9
	s_and_saveexec_b64 s[2:3], s[0:1]
	s_cbranch_execz .LBB0_13
; %bb.10:
	v_mov_b32_e32 v65, 0
	v_lshl_add_u64 v[0:1], v[64:65], 4, v[62:63]
	v_add_co_u32_e32 v10, vcc, 0x1000, v0
	s_movk_i32 s8, 0x4000
	s_nop 0
	v_addc_co_u32_e32 v11, vcc, 0, v1, vcc
	v_add_co_u32_e32 v22, vcc, 0x3000, v0
                                        ; implicit-def: $vgpr46_vgpr47
                                        ; implicit-def: $vgpr34_vgpr35
                                        ; implicit-def: $vgpr30_vgpr31
	s_nop 1
	v_addc_co_u32_e32 v23, vcc, 0, v1, vcc
	v_add_co_u32_e32 v24, vcc, 0x4000, v0
	global_load_dwordx4 v[2:5], v[10:11], off offset:2240
	global_load_dwordx4 v[6:9], v[22:23], off offset:384
	v_addc_co_u32_e32 v25, vcc, 0, v1, vcc
	v_add_co_u32_e32 v26, vcc, 0x2000, v0
	global_load_dwordx4 v[18:21], v[0:1], off
	global_load_dwordx4 v[10:13], v[0:1], off offset:2816
	v_addc_co_u32_e32 v27, vcc, 0, v1, vcc
	v_add_co_u32_e32 v28, vcc, 0x5000, v0
	global_load_dwordx4 v[42:45], v[24:25], off offset:2624
	global_load_dwordx4 v[14:17], v[22:23], off offset:3200
	v_addc_co_u32_e32 v29, vcc, 0, v1, vcc
	global_load_dwordx4 v[22:25], v[26:27], off offset:960
	global_load_dwordx4 v[38:41], v[28:29], off offset:1344
	v_cmp_gt_u32_e32 vcc, 44, v64
                                        ; implicit-def: $vgpr26_vgpr27
	s_and_saveexec_b64 s[6:7], vcc
	s_cbranch_execz .LBB0_12
; %bb.11:
	v_add_co_u32_e32 v34, vcc, 0x1000, v0
	s_nop 1
	v_addc_co_u32_e32 v35, vcc, 0, v1, vcc
	v_add_co_u32_e32 v36, vcc, 0x2000, v0
	s_nop 1
	v_addc_co_u32_e32 v37, vcc, 0, v1, vcc
	v_add_co_u32_e32 v50, vcc, s8, v0
	global_load_dwordx4 v[26:29], v[34:35], off offset:1536
	global_load_dwordx4 v[30:33], v[36:37], off offset:3776
	v_addc_co_u32_e32 v51, vcc, 0, v1, vcc
	v_add_co_u32_e32 v0, vcc, 0x6000, v0
	s_nop 1
	v_addc_co_u32_e32 v1, vcc, 0, v1, vcc
	global_load_dwordx4 v[34:37], v[50:51], off offset:1920
	global_load_dwordx4 v[46:49], v[0:1], off offset:64
.LBB0_12:
	s_or_b64 exec, exec, s[6:7]
.LBB0_13:
	s_or_b64 exec, exec, s[2:3]
	s_waitcnt vmcnt(5)
	v_add_f64 v[50:51], v[18:19], -v[6:7]
	s_waitcnt vmcnt(3)
	v_add_f64 v[6:7], v[2:3], -v[42:43]
	v_fma_f64 v[52:53], v[18:19], 2.0, -v[50:51]
	v_add_f64 v[18:19], v[4:5], -v[44:45]
	v_fma_f64 v[0:1], v[2:3], 2.0, -v[6:7]
	v_add_f64 v[0:1], v[52:53], -v[0:1]
	v_add_f64 v[2:3], v[18:19], v[50:51]
	v_fma_f64 v[42:43], v[52:53], 2.0, -v[0:1]
	v_fma_f64 v[44:45], v[50:51], 2.0, -v[2:3]
	v_lshl_add_u32 v61, v64, 5, 0
	ds_write_b128 v61, v[42:45]
	s_waitcnt vmcnt(2)
	v_add_f64 v[42:43], v[10:11], -v[14:15]
	s_waitcnt vmcnt(0)
	v_add_f64 v[14:15], v[22:23], -v[38:39]
	v_fma_f64 v[10:11], v[10:11], 2.0, -v[42:43]
	ds_write_b128 v61, v[0:3] offset:16
	v_fma_f64 v[0:1], v[22:23], 2.0, -v[14:15]
	v_add_f64 v[58:59], v[24:25], -v[40:41]
	v_add_f64 v[0:1], v[10:11], -v[0:1]
	v_add_u32_e32 v60, 0xb0, v64
	v_add_f64 v[2:3], v[58:59], v[42:43]
	v_fma_f64 v[38:39], v[10:11], 2.0, -v[0:1]
	v_lshl_add_u32 v66, v60, 5, 0
	v_add_f64 v[34:35], v[26:27], -v[34:35]
	v_add_f64 v[10:11], v[30:31], -v[46:47]
	ds_write_b128 v66, v[0:3] offset:16
	v_fma_f64 v[26:27], v[26:27], 2.0, -v[34:35]
	v_add_f64 v[22:23], v[32:33], -v[48:49]
	v_fma_f64 v[0:1], v[30:31], 2.0, -v[10:11]
	v_fma_f64 v[40:41], v[42:43], 2.0, -v[2:3]
	v_add_f64 v[0:1], v[26:27], -v[0:1]
	v_add_f64 v[2:3], v[22:23], v[34:35]
	v_add_u32_e32 v78, 0x160, v64
	ds_write_b128 v66, v[38:41]
	v_fma_f64 v[38:39], v[26:27], 2.0, -v[0:1]
	v_fma_f64 v[40:41], v[34:35], 2.0, -v[2:3]
	v_cmp_gt_u32_e32 vcc, 44, v64
	v_lshl_add_u32 v26, v78, 5, 0
	s_and_saveexec_b64 s[2:3], vcc
	s_cbranch_execz .LBB0_15
; %bb.14:
	ds_write_b128 v26, v[38:41]
	ds_write_b128 v26, v[0:3] offset:16
.LBB0_15:
	s_or_b64 exec, exec, s[2:3]
	s_movk_i32 s2, 0xffe8
	v_mad_i32_i24 v65, v64, s2, v61
	v_add_u32_e32 v2, 0x1800, v65
	s_waitcnt lgkmcnt(0)
	s_barrier
	ds_read2_b64 v[42:45], v2 offset0:24 offset1:200
	v_add_u32_e32 v2, 0xa00, v65
	ds_read2_b64 v[54:57], v2 offset0:32 offset1:208
	v_add_u32_e32 v2, 0x2200, v65
	ds_read2_b64 v[50:53], v65 offset1:176
	ds_read2_b64 v[46:49], v2 offset0:56 offset1:232
	s_movk_i32 s2, 0x58
	v_cmp_gt_u32_e64 s[2:3], s2, v64
	s_and_saveexec_b64 s[6:7], s[2:3]
	s_cbranch_execz .LBB0_17
; %bb.16:
	ds_read_b64 v[38:39], v65 offset:5632
	ds_read_b64 v[40:41], v65 offset:11968
.LBB0_17:
	s_or_b64 exec, exec, s[6:7]
	v_add_f64 v[2:3], v[20:21], -v[8:9]
	v_fma_f64 v[8:9], v[20:21], 2.0, -v[2:3]
	v_add_f64 v[20:21], v[2:3], -v[6:7]
	v_fma_f64 v[4:5], v[4:5], 2.0, -v[18:19]
	v_fma_f64 v[70:71], v[2:3], 2.0, -v[20:21]
	v_add_f64 v[2:3], v[12:13], -v[16:17]
	v_add_f64 v[18:19], v[8:9], -v[4:5]
	v_fma_f64 v[4:5], v[12:13], 2.0, -v[2:3]
	v_fma_f64 v[6:7], v[24:25], 2.0, -v[58:59]
	v_add_f64 v[12:13], v[4:5], -v[6:7]
	v_add_f64 v[14:15], v[2:3], -v[14:15]
	;; [unrolled: 1-line block ×3, first 2 shown]
	v_fma_f64 v[72:73], v[4:5], 2.0, -v[12:13]
	v_fma_f64 v[74:75], v[2:3], 2.0, -v[14:15]
	;; [unrolled: 1-line block ×4, first 2 shown]
	v_add_f64 v[2:3], v[4:5], -v[2:3]
	v_fma_f64 v[68:69], v[8:9], 2.0, -v[18:19]
	v_fma_f64 v[8:9], v[4:5], 2.0, -v[2:3]
	v_add_f64 v[4:5], v[6:7], -v[10:11]
	v_fma_f64 v[10:11], v[6:7], 2.0, -v[4:5]
	s_waitcnt lgkmcnt(0)
	s_barrier
	ds_write_b128 v61, v[68:71]
	ds_write_b128 v61, v[18:21] offset:16
	ds_write_b128 v66, v[72:75]
	ds_write_b128 v66, v[12:15] offset:16
	s_and_saveexec_b64 s[6:7], vcc
	s_cbranch_execz .LBB0_19
; %bb.18:
	ds_write_b128 v26, v[8:11]
	ds_write_b128 v26, v[2:5] offset:16
.LBB0_19:
	s_or_b64 exec, exec, s[6:7]
	v_add_u32_e32 v4, 0x1800, v65
	s_waitcnt lgkmcnt(0)
	s_barrier
	ds_read2_b64 v[20:23], v4 offset0:24 offset1:200
	v_add_u32_e32 v4, 0xa00, v65
	ds_read2_b64 v[16:19], v4 offset0:32 offset1:208
	v_add_u32_e32 v4, 0x2200, v65
	ds_read2_b64 v[12:15], v65 offset1:176
	ds_read2_b64 v[24:27], v4 offset0:56 offset1:232
	s_and_saveexec_b64 s[6:7], s[2:3]
	s_cbranch_execz .LBB0_21
; %bb.20:
	ds_read_b64 v[8:9], v65 offset:5632
	ds_read_b64 v[10:11], v65 offset:11968
.LBB0_21:
	s_or_b64 exec, exec, s[6:7]
	v_and_b32_e32 v69, 3, v64
	v_lshlrev_b32_e32 v4, 4, v69
	global_load_dwordx4 v[32:35], v4, s[4:5]
	v_lshlrev_b32_e32 v66, 1, v64
	s_movk_i32 s6, 0x1f8
	v_lshlrev_b32_e32 v68, 1, v60
	s_movk_i32 s7, 0x3f8
	s_movk_i32 s8, 0x7f8
	v_and_or_b32 v4, v66, s6, v69
	v_add_u32_e32 v71, 0x420, v66
	v_lshlrev_b32_e32 v70, 1, v78
	v_and_or_b32 v5, v68, s7, v69
	v_lshl_add_u32 v79, v4, 3, 0
	v_and_or_b32 v4, v71, s8, v69
	v_and_or_b32 v6, v70, s8, v69
	v_lshl_add_u32 v80, v5, 3, 0
	v_lshl_add_u32 v82, v4, 3, 0
	;; [unrolled: 1-line block ×3, first 2 shown]
	v_add_u32_e32 v58, 0x2c0, v64
	v_lshlrev_b32_e32 v67, 1, v58
	s_waitcnt lgkmcnt(0)
	s_barrier
	s_waitcnt vmcnt(0)
	v_mul_f64 v[4:5], v[20:21], v[34:35]
	v_mul_f64 v[36:37], v[10:11], v[34:35]
	;; [unrolled: 1-line block ×5, first 2 shown]
	v_fmac_f64_e32 v[4:5], v[42:43], v[32:33]
	v_fmac_f64_e32 v[36:37], v[40:41], v[32:33]
	;; [unrolled: 1-line block ×5, first 2 shown]
	v_add_f64 v[4:5], v[50:51], -v[4:5]
	v_add_f64 v[36:37], v[38:39], -v[36:37]
	;; [unrolled: 1-line block ×5, first 2 shown]
	v_fma_f64 v[50:51], v[50:51], 2.0, -v[4:5]
	v_fma_f64 v[76:77], v[38:39], 2.0, -v[36:37]
	;; [unrolled: 1-line block ×5, first 2 shown]
	ds_write2_b64 v79, v[50:51], v[4:5] offset1:4
	ds_write2_b64 v80, v[52:53], v[6:7] offset1:4
	;; [unrolled: 1-line block ×4, first 2 shown]
	s_and_saveexec_b64 s[6:7], s[2:3]
	s_cbranch_execz .LBB0_23
; %bb.22:
	v_and_or_b32 v4, v67, s8, v69
	v_lshl_add_u32 v4, v4, 3, 0
	ds_write2_b64 v4, v[76:77], v[36:37] offset1:4
.LBB0_23:
	s_or_b64 exec, exec, s[6:7]
	v_add_u32_e32 v28, 0xa00, v65
	s_waitcnt lgkmcnt(0)
	s_barrier
	v_add_u32_e32 v4, 0x1800, v65
	ds_read2_b64 v[58:61], v28 offset0:32 offset1:208
	v_add_u32_e32 v28, 0x2200, v65
	ds_read2_b64 v[54:57], v65 offset1:176
	ds_read2_b64 v[4:7], v4 offset0:24 offset1:200
	ds_read2_b64 v[28:31], v28 offset0:56 offset1:232
	s_and_saveexec_b64 s[6:7], s[2:3]
	s_cbranch_execz .LBB0_25
; %bb.24:
	ds_read_b64 v[76:77], v65 offset:5632
	ds_read_b64 v[36:37], v65 offset:11968
.LBB0_25:
	s_or_b64 exec, exec, s[6:7]
	v_mul_f64 v[38:39], v[42:43], v[34:35]
	v_fma_f64 v[20:21], v[20:21], v[32:33], -v[38:39]
	v_mul_f64 v[38:39], v[44:45], v[34:35]
	v_fma_f64 v[22:23], v[22:23], v[32:33], -v[38:39]
	;; [unrolled: 2-line block ×3, first 2 shown]
	v_mul_f64 v[38:39], v[48:49], v[34:35]
	v_mul_f64 v[34:35], v[40:41], v[34:35]
	v_fma_f64 v[10:11], v[10:11], v[32:33], -v[34:35]
	v_fma_f64 v[26:27], v[26:27], v[32:33], -v[38:39]
	v_add_f64 v[20:21], v[12:13], -v[20:21]
	v_add_f64 v[74:75], v[8:9], -v[10:11]
	v_fma_f64 v[12:13], v[12:13], 2.0, -v[20:21]
	v_add_f64 v[22:23], v[14:15], -v[22:23]
	v_add_f64 v[24:25], v[16:17], -v[24:25]
	;; [unrolled: 1-line block ×3, first 2 shown]
	v_fma_f64 v[72:73], v[8:9], 2.0, -v[74:75]
	v_fma_f64 v[14:15], v[14:15], 2.0, -v[22:23]
	;; [unrolled: 1-line block ×4, first 2 shown]
	s_waitcnt lgkmcnt(0)
	s_barrier
	ds_write2_b64 v79, v[12:13], v[20:21] offset1:4
	ds_write2_b64 v80, v[14:15], v[22:23] offset1:4
	;; [unrolled: 1-line block ×4, first 2 shown]
	s_and_saveexec_b64 s[6:7], s[2:3]
	s_cbranch_execz .LBB0_27
; %bb.26:
	v_and_or_b32 v8, v67, s8, v69
	v_lshl_add_u32 v8, v8, 3, 0
	ds_write2_b64 v8, v[72:73], v[74:75] offset1:4
.LBB0_27:
	s_or_b64 exec, exec, s[6:7]
	v_add_u32_e32 v8, 0x1800, v65
	s_waitcnt lgkmcnt(0)
	s_barrier
	ds_read2_b64 v[42:45], v8 offset0:24 offset1:200
	v_add_u32_e32 v8, 0xa00, v65
	ds_read2_b64 v[38:41], v8 offset0:32 offset1:208
	v_add_u32_e32 v8, 0x2200, v65
	ds_read2_b64 v[32:35], v65 offset1:176
	ds_read2_b64 v[46:49], v8 offset0:56 offset1:232
	s_and_saveexec_b64 s[6:7], s[2:3]
	s_cbranch_execz .LBB0_29
; %bb.28:
	ds_read_b64 v[72:73], v65 offset:5632
	ds_read_b64 v[74:75], v65 offset:11968
.LBB0_29:
	s_or_b64 exec, exec, s[6:7]
	v_and_b32_e32 v69, 7, v64
	v_lshlrev_b32_e32 v8, 4, v69
	global_load_dwordx4 v[50:53], v8, s[4:5] offset:64
	s_movk_i32 s6, 0x1f0
	s_movk_i32 s7, 0x3f0
	;; [unrolled: 1-line block ×3, first 2 shown]
	v_and_or_b32 v8, v66, s6, v69
	v_and_or_b32 v9, v68, s7, v69
	;; [unrolled: 1-line block ×3, first 2 shown]
	v_lshl_add_u32 v71, v8, 3, 0
	v_lshl_add_u32 v79, v9, 3, 0
	v_and_or_b32 v10, v70, s8, v69
	v_lshl_add_u32 v80, v10, 3, 0
	v_lshl_add_u32 v81, v11, 3, 0
	s_waitcnt lgkmcnt(0)
	s_barrier
	s_waitcnt vmcnt(0)
	v_mul_f64 v[8:9], v[42:43], v[52:53]
	v_mul_f64 v[12:13], v[44:45], v[52:53]
	;; [unrolled: 1-line block ×5, first 2 shown]
	v_fmac_f64_e32 v[8:9], v[4:5], v[50:51]
	v_fmac_f64_e32 v[12:13], v[6:7], v[50:51]
	;; [unrolled: 1-line block ×5, first 2 shown]
	v_add_f64 v[10:11], v[54:55], -v[8:9]
	v_add_f64 v[26:27], v[56:57], -v[12:13]
	;; [unrolled: 1-line block ×5, first 2 shown]
	v_fma_f64 v[8:9], v[54:55], 2.0, -v[10:11]
	v_fma_f64 v[24:25], v[56:57], 2.0, -v[26:27]
	;; [unrolled: 1-line block ×5, first 2 shown]
	ds_write2_b64 v71, v[8:9], v[10:11] offset1:8
	ds_write2_b64 v79, v[24:25], v[26:27] offset1:8
	;; [unrolled: 1-line block ×4, first 2 shown]
	s_and_saveexec_b64 s[6:7], s[2:3]
	s_cbranch_execz .LBB0_31
; %bb.30:
	v_and_or_b32 v54, v67, s8, v69
	v_lshl_add_u32 v54, v54, 3, 0
	ds_write2_b64 v54, v[16:17], v[18:19] offset1:8
.LBB0_31:
	s_or_b64 exec, exec, s[6:7]
	s_movk_i32 s6, 0x90
	v_cmp_gt_u32_e32 vcc, s6, v64
	s_waitcnt lgkmcnt(0)
	s_barrier
	s_and_saveexec_b64 s[6:7], vcc
	s_cbranch_execz .LBB0_33
; %bb.32:
	v_add_u32_e32 v0, 0x800, v65
	ds_read2_b64 v[24:27], v0 offset0:32 offset1:176
	v_add_u32_e32 v0, 0x1000, v65
	ds_read2_b64 v[12:15], v0 offset0:64 offset1:208
	v_add_u32_e32 v0, 0x1800, v65
	ds_read2_b64 v[20:23], v0 offset0:96 offset1:240
	v_add_u32_e32 v0, 0x2400, v65
	ds_read2_b64 v[8:11], v65 offset1:144
	ds_read2_b64 v[16:19], v0 offset1:144
	ds_read_b64 v[0:1], v65 offset:11520
.LBB0_33:
	s_or_b64 exec, exec, s[6:7]
	v_mul_f64 v[4:5], v[4:5], v[52:53]
	v_mul_f64 v[6:7], v[6:7], v[52:53]
	v_fma_f64 v[4:5], v[42:43], v[50:51], -v[4:5]
	v_fma_f64 v[42:43], v[44:45], v[50:51], -v[6:7]
	v_mul_f64 v[6:7], v[28:29], v[52:53]
	v_fma_f64 v[44:45], v[46:47], v[50:51], -v[6:7]
	v_mul_f64 v[6:7], v[30:31], v[52:53]
	;; [unrolled: 2-line block ×3, first 2 shown]
	v_add_f64 v[30:31], v[34:35], -v[42:43]
	v_fma_f64 v[48:49], v[74:75], v[50:51], -v[6:7]
	v_add_f64 v[6:7], v[32:33], -v[4:5]
	v_fma_f64 v[28:29], v[34:35], 2.0, -v[30:31]
	v_add_f64 v[34:35], v[38:39], -v[44:45]
	v_fma_f64 v[4:5], v[32:33], 2.0, -v[6:7]
	v_fma_f64 v[32:33], v[38:39], 2.0, -v[34:35]
	v_add_f64 v[38:39], v[40:41], -v[46:47]
	v_add_f64 v[42:43], v[72:73], -v[48:49]
	v_fma_f64 v[36:37], v[40:41], 2.0, -v[38:39]
	v_fma_f64 v[40:41], v[72:73], 2.0, -v[42:43]
	s_waitcnt lgkmcnt(0)
	s_barrier
	ds_write2_b64 v71, v[4:5], v[6:7] offset1:8
	ds_write2_b64 v79, v[28:29], v[30:31] offset1:8
	;; [unrolled: 1-line block ×4, first 2 shown]
	s_and_saveexec_b64 s[6:7], s[2:3]
	s_cbranch_execz .LBB0_35
; %bb.34:
	s_movk_i32 s2, 0x7f0
	v_and_or_b32 v44, v67, s2, v69
	v_lshl_add_u32 v44, v44, 3, 0
	ds_write2_b64 v44, v[40:41], v[42:43] offset1:8
.LBB0_35:
	s_or_b64 exec, exec, s[6:7]
	s_waitcnt lgkmcnt(0)
	s_barrier
	s_and_saveexec_b64 s[2:3], vcc
	s_cbranch_execz .LBB0_37
; %bb.36:
	v_add_u32_e32 v2, 0x800, v65
	ds_read2_b64 v[28:31], v2 offset0:32 offset1:176
	v_add_u32_e32 v2, 0x1000, v65
	ds_read2_b64 v[32:35], v2 offset0:64 offset1:208
	;; [unrolled: 2-line block ×3, first 2 shown]
	v_add_u32_e32 v2, 0x2400, v65
	ds_read2_b64 v[4:7], v65 offset1:144
	ds_read2_b64 v[40:43], v2 offset1:144
	ds_read_b64 v[2:3], v65 offset:11520
.LBB0_37:
	s_or_b64 exec, exec, s[2:3]
	v_and_b32_e32 v67, 15, v64
	v_mul_u32_u24_e32 v44, 10, v67
	v_lshlrev_b32_e32 v44, 4, v44
	global_load_dwordx4 v[58:61], v44, s[4:5] offset:208
	global_load_dwordx4 v[80:83], v44, s[4:5] offset:224
	;; [unrolled: 1-line block ×10, first 2 shown]
	s_waitcnt lgkmcnt(0)
	s_barrier
	s_waitcnt vmcnt(9)
	v_mul_f64 v[56:57], v[28:29], v[60:61]
	v_mul_f64 v[60:61], v[24:25], v[60:61]
	s_waitcnt vmcnt(8)
	v_mul_f64 v[52:53], v[30:31], v[82:83]
	v_mul_f64 v[76:77], v[26:27], v[82:83]
	;; [unrolled: 3-line block ×8, first 2 shown]
	v_fmac_f64_e32 v[56:57], v[24:25], v[58:59]
	v_fma_f64 v[58:59], v[28:29], v[58:59], -v[60:61]
	s_waitcnt vmcnt(1)
	v_mul_f64 v[60:61], v[42:43], v[110:111]
	v_mul_f64 v[106:107], v[18:19], v[110:111]
	s_waitcnt vmcnt(0)
	v_mul_f64 v[74:75], v[2:3], v[114:115]
	v_mul_f64 v[110:111], v[0:1], v[114:115]
	v_fmac_f64_e32 v[52:53], v[26:27], v[80:81]
	v_fma_f64 v[28:29], v[30:31], v[80:81], -v[76:77]
	v_fmac_f64_e32 v[48:49], v[12:13], v[84:85]
	v_fma_f64 v[26:27], v[32:33], v[84:85], -v[82:83]
	;; [unrolled: 2-line block ×9, first 2 shown]
	v_lshrrev_b32_e32 v38, 4, v64
	s_and_saveexec_b64 s[2:3], vcc
	s_cbranch_execz .LBB0_39
; %bb.38:
	s_mov_b32 s16, 0xfd768dbf
	s_mov_b32 s24, 0xf8bb580b
	v_add_f64 v[82:83], v[34:35], -v[36:37]
	s_mov_b32 s17, 0xbfd207e7
	s_mov_b32 s18, 0x9bcd5057
	;; [unrolled: 1-line block ×3, first 2 shown]
	v_add_f64 v[40:41], v[58:59], -v[32:33]
	s_mov_b32 s25, 0x3fe14ced
	s_mov_b32 s14, 0x8764f0ba
	v_add_f64 v[80:81], v[72:73], v[74:75]
	v_mul_f64 v[84:85], v[82:83], s[16:17]
	s_mov_b32 s19, 0xbfeeb42a
	v_add_f64 v[14:15], v[28:29], -v[30:31]
	s_mov_b32 s13, 0xbfe82f19
	s_mov_b32 s8, 0x7f775887
	v_add_f64 v[18:19], v[56:57], v[60:61]
	v_mul_f64 v[42:43], v[40:41], s[24:25]
	s_mov_b32 s15, 0x3feaeb8c
	v_fma_f64 v[86:87], v[80:81], s[18:19], -v[84:85]
	v_add_f64 v[6:7], v[26:27], -v[22:23]
	s_mov_b32 s11, 0x3fed1bb4
	s_mov_b32 s10, 0x8eee2c13
	;; [unrolled: 1-line block ×3, first 2 shown]
	v_add_f64 v[12:13], v[52:53], v[54:55]
	v_mul_f64 v[16:17], v[14:15], s[12:13]
	s_mov_b32 s9, 0xbfe4f49e
	v_fma_f64 v[76:77], v[18:19], s[14:15], -v[42:43]
	v_add_f64 v[86:87], v[8:9], v[86:87]
	v_add_f64 v[2:3], v[48:49], v[50:51]
	v_mul_f64 v[10:11], v[6:7], s[10:11]
	s_mov_b32 s7, 0x3fda9628
	v_add_f64 v[76:77], v[76:77], v[86:87]
	v_fma_f64 v[86:87], v[12:13], s[8:9], -v[16:17]
	v_fmac_f64_e32 v[84:85], s[18:19], v[80:81]
	v_add_f64 v[76:77], v[86:87], v[76:77]
	v_fma_f64 v[86:87], v[2:3], s[6:7], -v[10:11]
	s_mov_b32 s22, 0x43842ef
	v_fmac_f64_e32 v[42:43], s[14:15], v[18:19]
	v_add_f64 v[84:85], v[8:9], v[84:85]
	v_add_f64 v[76:77], v[86:87], v[76:77]
	v_add_f64 v[86:87], v[24:25], -v[20:21]
	s_mov_b32 s23, 0xbfefac9e
	s_mov_b32 s20, 0x640f44db
	v_add_f64 v[42:43], v[42:43], v[84:85]
	v_fmac_f64_e32 v[16:17], s[8:9], v[12:13]
	v_add_f64 v[0:1], v[44:45], v[46:47]
	s_mov_b32 s21, 0xbfc2375f
	v_mul_f64 v[88:89], v[86:87], s[22:23]
	v_fmac_f64_e32 v[10:11], s[6:7], v[2:3]
	v_add_f64 v[16:17], v[16:17], v[42:43]
	s_mov_b32 s29, 0x3fefac9e
	s_mov_b32 s28, s22
	v_mul_f64 v[42:43], v[82:83], s[12:13]
	v_fma_f64 v[90:91], v[0:1], s[20:21], -v[88:89]
	v_fmac_f64_e32 v[88:89], s[20:21], v[0:1]
	v_add_f64 v[10:11], v[10:11], v[16:17]
	v_mul_f64 v[16:17], v[40:41], s[28:29]
	v_fma_f64 v[84:85], v[80:81], s[8:9], -v[42:43]
	v_add_f64 v[10:11], v[88:89], v[10:11]
	v_add_f64 v[84:85], v[8:9], v[84:85]
	v_fma_f64 v[88:89], v[18:19], s[20:21], -v[16:17]
	s_mov_b32 s27, 0xbfe14ced
	s_mov_b32 s26, s24
	v_add_f64 v[84:85], v[88:89], v[84:85]
	v_mul_f64 v[88:89], v[14:15], s[26:27]
	v_add_f64 v[76:77], v[90:91], v[76:77]
	v_fma_f64 v[90:91], v[12:13], s[14:15], -v[88:89]
	v_fmac_f64_e32 v[42:43], s[8:9], v[80:81]
	v_add_f64 v[84:85], v[90:91], v[84:85]
	v_mul_f64 v[90:91], v[6:7], s[16:17]
	v_fmac_f64_e32 v[16:17], s[20:21], v[18:19]
	v_add_f64 v[42:43], v[8:9], v[42:43]
	v_fma_f64 v[92:93], v[2:3], s[18:19], -v[90:91]
	v_add_f64 v[16:17], v[16:17], v[42:43]
	v_fmac_f64_e32 v[88:89], s[14:15], v[12:13]
	v_add_f64 v[84:85], v[92:93], v[84:85]
	v_mul_f64 v[92:93], v[86:87], s[10:11]
	v_add_f64 v[16:17], v[88:89], v[16:17]
	v_fmac_f64_e32 v[90:91], s[18:19], v[2:3]
	s_mov_b32 s31, 0x3fd207e7
	s_mov_b32 s30, s16
	v_mul_f64 v[42:43], v[82:83], s[22:23]
	v_fma_f64 v[94:95], v[0:1], s[6:7], -v[92:93]
	v_add_f64 v[16:17], v[90:91], v[16:17]
	v_fmac_f64_e32 v[92:93], s[6:7], v[0:1]
	v_fma_f64 v[88:89], v[80:81], s[20:21], -v[42:43]
	v_mul_f64 v[90:91], v[40:41], s[30:31]
	v_add_f64 v[16:17], v[92:93], v[16:17]
	v_add_f64 v[88:89], v[8:9], v[88:89]
	v_fma_f64 v[92:93], v[18:19], s[18:19], -v[90:91]
	v_add_f64 v[88:89], v[92:93], v[88:89]
	v_mul_f64 v[92:93], v[14:15], s[10:11]
	v_add_f64 v[84:85], v[94:95], v[84:85]
	v_fma_f64 v[94:95], v[12:13], s[6:7], -v[92:93]
	v_fmac_f64_e32 v[42:43], s[20:21], v[80:81]
	v_add_f64 v[88:89], v[94:95], v[88:89]
	v_mul_f64 v[94:95], v[6:7], s[26:27]
	v_fmac_f64_e32 v[90:91], s[18:19], v[18:19]
	v_add_f64 v[42:43], v[8:9], v[42:43]
	v_fma_f64 v[96:97], v[2:3], s[14:15], -v[94:95]
	v_add_f64 v[42:43], v[90:91], v[42:43]
	v_fmac_f64_e32 v[92:93], s[6:7], v[12:13]
	s_mov_b32 s11, 0xbfed1bb4
	v_add_f64 v[88:89], v[96:97], v[88:89]
	v_mul_f64 v[96:97], v[86:87], s[12:13]
	v_add_f64 v[42:43], v[92:93], v[42:43]
	v_fmac_f64_e32 v[94:95], s[14:15], v[2:3]
	v_mul_f64 v[90:91], v[82:83], s[10:11]
	v_fma_f64 v[98:99], v[0:1], s[8:9], -v[96:97]
	v_add_f64 v[42:43], v[94:95], v[42:43]
	v_fmac_f64_e32 v[96:97], s[8:9], v[0:1]
	v_fma_f64 v[92:93], v[80:81], s[6:7], -v[90:91]
	v_mul_f64 v[94:95], v[40:41], s[12:13]
	v_add_f64 v[42:43], v[96:97], v[42:43]
	v_add_f64 v[92:93], v[8:9], v[92:93]
	v_fma_f64 v[96:97], v[18:19], s[8:9], -v[94:95]
	v_fmac_f64_e32 v[90:91], s[6:7], v[80:81]
	v_add_f64 v[92:93], v[96:97], v[92:93]
	v_mul_f64 v[96:97], v[14:15], s[30:31]
	v_fmac_f64_e32 v[94:95], s[8:9], v[18:19]
	v_add_f64 v[90:91], v[8:9], v[90:91]
	v_mul_f64 v[82:83], v[82:83], s[26:27]
	v_add_f64 v[88:89], v[98:99], v[88:89]
	v_fma_f64 v[98:99], v[12:13], s[18:19], -v[96:97]
	v_add_f64 v[90:91], v[94:95], v[90:91]
	v_fmac_f64_e32 v[96:97], s[18:19], v[12:13]
	v_mul_f64 v[40:41], v[40:41], s[10:11]
	v_fma_f64 v[94:95], v[80:81], s[14:15], -v[82:83]
	v_add_f64 v[90:91], v[96:97], v[90:91]
	v_add_f64 v[94:95], v[8:9], v[94:95]
	v_fma_f64 v[96:97], v[18:19], s[6:7], -v[40:41]
	v_mul_f64 v[14:15], v[14:15], s[22:23]
	v_add_f64 v[92:93], v[98:99], v[92:93]
	v_mul_f64 v[98:99], v[6:7], s[28:29]
	v_add_f64 v[94:95], v[96:97], v[94:95]
	v_fma_f64 v[96:97], v[12:13], s[20:21], -v[14:15]
	v_mul_f64 v[6:7], v[6:7], s[12:13]
	v_fma_f64 v[100:101], v[2:3], s[20:21], -v[98:99]
	v_fmac_f64_e32 v[98:99], s[20:21], v[2:3]
	v_add_f64 v[94:95], v[96:97], v[94:95]
	v_fma_f64 v[96:97], v[2:3], s[8:9], -v[6:7]
	v_fmac_f64_e32 v[6:7], s[8:9], v[2:3]
	v_add_f64 v[2:3], v[8:9], v[72:73]
	v_add_f64 v[2:3], v[2:3], v[56:57]
	;; [unrolled: 1-line block ×4, first 2 shown]
	v_mul_f64 v[100:101], v[86:87], s[24:25]
	v_mul_f64 v[86:87], v[86:87], s[16:17]
	v_fmac_f64_e32 v[82:83], s[14:15], v[80:81]
	v_add_f64 v[2:3], v[2:3], v[48:49]
	v_fma_f64 v[102:103], v[0:1], s[14:15], -v[100:101]
	v_fmac_f64_e32 v[100:101], s[14:15], v[0:1]
	v_add_f64 v[94:95], v[96:97], v[94:95]
	v_fma_f64 v[96:97], v[0:1], s[18:19], -v[86:87]
	v_fmac_f64_e32 v[86:87], s[18:19], v[0:1]
	v_fmac_f64_e32 v[40:41], s[6:7], v[18:19]
	v_add_f64 v[0:1], v[8:9], v[82:83]
	v_add_f64 v[2:3], v[2:3], v[44:45]
	v_fmac_f64_e32 v[14:15], s[20:21], v[12:13]
	v_add_f64 v[0:1], v[40:41], v[0:1]
	v_add_f64 v[2:3], v[2:3], v[46:47]
	;; [unrolled: 1-line block ×6, first 2 shown]
	v_mul_u32_u24_e32 v6, 0xb0, v38
	v_add_f64 v[2:3], v[2:3], v[60:61]
	v_or_b32_e32 v6, v6, v67
	v_add_f64 v[90:91], v[98:99], v[90:91]
	v_add_f64 v[0:1], v[86:87], v[0:1]
	;; [unrolled: 1-line block ×3, first 2 shown]
	v_lshl_add_u32 v6, v6, 3, 0
	v_add_f64 v[92:93], v[102:103], v[92:93]
	v_add_f64 v[90:91], v[100:101], v[90:91]
	v_add_f64 v[94:95], v[96:97], v[94:95]
	ds_write2_b64 v6, v[2:3], v[0:1] offset1:16
	ds_write2_b64 v6, v[90:91], v[42:43] offset0:32 offset1:48
	ds_write2_b64 v6, v[16:17], v[10:11] offset0:64 offset1:80
	;; [unrolled: 1-line block ×4, first 2 shown]
	ds_write_b64 v6, v[94:95] offset:1280
.LBB0_39:
	s_or_b64 exec, exec, s[2:3]
	v_add_u32_e32 v39, 0xa00, v65
	v_add_u32_e32 v41, 0x2000, v65
	;; [unrolled: 1-line block ×3, first 2 shown]
	s_waitcnt lgkmcnt(0)
	s_barrier
	ds_read2_b64 v[6:9], v65 offset1:176
	ds_read2_b64 v[0:3], v39 offset0:32 offset1:208
	ds_read2_b64 v[14:17], v41 offset0:32 offset1:208
	;; [unrolled: 1-line block ×3, first 2 shown]
	ds_read_b64 v[18:19], v65 offset:11264
	s_waitcnt lgkmcnt(0)
	s_barrier
	s_and_saveexec_b64 s[2:3], vcc
	s_cbranch_execz .LBB0_41
; %bb.40:
	v_add_f64 v[42:43], v[4:5], v[34:35]
	v_add_f64 v[42:43], v[42:43], v[58:59]
	;; [unrolled: 1-line block ×8, first 2 shown]
	s_mov_b32 s6, 0x8764f0ba
	s_mov_b32 s10, 0xd9c712b6
	s_mov_b32 s18, 0x640f44db
	s_mov_b32 s24, 0x7f775887
	s_mov_b32 s30, 0x9bcd5057
	v_add_f64 v[42:43], v[42:43], v[32:33]
	v_add_f64 v[34:35], v[34:35], v[36:37]
	s_mov_b32 s7, 0x3feaeb8c
	s_mov_b32 s8, 0xf8bb580b
	;; [unrolled: 1-line block ×10, first 2 shown]
	v_add_f64 v[42:43], v[42:43], v[36:37]
	v_add_f64 v[36:37], v[72:73], -v[74:75]
	v_mul_f64 v[72:73], v[34:35], s[6:7]
	s_mov_b32 s9, 0x3fe14ced
	s_mov_b32 s15, 0xbfe14ced
	s_mov_b32 s14, s8
	v_mul_f64 v[76:77], v[34:35], s[10:11]
	s_mov_b32 s13, 0x3fed1bb4
	s_mov_b32 s17, 0xbfed1bb4
	s_mov_b32 s16, s12
	;; [unrolled: 4-line block ×5, first 2 shown]
	v_fma_f64 v[74:75], s[8:9], v[36:37], v[72:73]
	v_fmac_f64_e32 v[72:73], s[14:15], v[36:37]
	v_fma_f64 v[80:81], s[12:13], v[36:37], v[76:77]
	v_fmac_f64_e32 v[76:77], s[16:17], v[36:37]
	;; [unrolled: 2-line block ×5, first 2 shown]
	v_add_f64 v[32:33], v[58:59], v[32:33]
	v_add_f64 v[74:75], v[4:5], v[74:75]
	;; [unrolled: 1-line block ×11, first 2 shown]
	v_add_f64 v[34:35], v[56:57], -v[60:61]
	v_mul_f64 v[36:37], v[32:33], s[10:11]
	v_fma_f64 v[56:57], s[12:13], v[34:35], v[36:37]
	v_fmac_f64_e32 v[36:37], s[16:17], v[34:35]
	v_mul_f64 v[58:59], v[32:33], s[24:25]
	v_add_f64 v[36:37], v[36:37], v[72:73]
	v_fma_f64 v[60:61], s[26:27], v[34:35], v[58:59]
	v_fmac_f64_e32 v[58:59], s[28:29], v[34:35]
	v_mul_f64 v[72:73], v[32:33], s[30:31]
	v_add_f64 v[56:57], v[56:57], v[74:75]
	v_add_f64 v[58:59], v[58:59], v[76:77]
	v_fma_f64 v[74:75], s[36:37], v[34:35], v[72:73]
	v_fmac_f64_e32 v[72:73], s[34:35], v[34:35]
	v_mul_f64 v[76:77], v[32:33], s[18:19]
	v_mul_f64 v[32:33], v[32:33], s[6:7]
	v_add_f64 v[72:73], v[72:73], v[82:83]
	v_fma_f64 v[82:83], s[14:15], v[34:35], v[32:33]
	v_fmac_f64_e32 v[32:33], s[8:9], v[34:35]
	v_add_f64 v[28:29], v[28:29], v[30:31]
	v_add_f64 v[4:5], v[32:33], v[4:5]
	v_add_f64 v[30:31], v[52:53], -v[54:55]
	v_mul_f64 v[32:33], v[28:29], s[18:19]
	v_add_f64 v[60:61], v[60:61], v[80:81]
	v_fma_f64 v[80:81], s[22:23], v[34:35], v[76:77]
	v_fmac_f64_e32 v[76:77], s[20:21], v[34:35]
	v_fma_f64 v[34:35], s[20:21], v[30:31], v[32:33]
	v_fmac_f64_e32 v[32:33], s[22:23], v[30:31]
	v_add_f64 v[32:33], v[32:33], v[36:37]
	v_mul_f64 v[36:37], v[28:29], s[30:31]
	v_fma_f64 v[52:53], s[36:37], v[30:31], v[36:37]
	v_fmac_f64_e32 v[36:37], s[34:35], v[30:31]
	v_mul_f64 v[54:55], v[28:29], s[10:11]
	v_add_f64 v[34:35], v[34:35], v[56:57]
	v_add_f64 v[36:37], v[36:37], v[58:59]
	v_fma_f64 v[56:57], s[16:17], v[30:31], v[54:55]
	v_fmac_f64_e32 v[54:55], s[12:13], v[30:31]
	v_mul_f64 v[58:59], v[28:29], s[6:7]
	v_mul_f64 v[28:29], v[28:29], s[24:25]
	v_add_f64 v[54:55], v[54:55], v[72:73]
	v_fma_f64 v[72:73], s[26:27], v[30:31], v[28:29]
	v_fmac_f64_e32 v[28:29], s[28:29], v[30:31]
	v_add_f64 v[22:23], v[26:27], v[22:23]
	v_add_f64 v[4:5], v[28:29], v[4:5]
	v_add_f64 v[26:27], v[48:49], -v[50:51]
	v_mul_f64 v[28:29], v[22:23], s[24:25]
	v_add_f64 v[52:53], v[52:53], v[60:61]
	v_fma_f64 v[60:61], s[8:9], v[30:31], v[58:59]
	v_fmac_f64_e32 v[58:59], s[14:15], v[30:31]
	v_fma_f64 v[30:31], s[26:27], v[26:27], v[28:29]
	v_fmac_f64_e32 v[28:29], s[28:29], v[26:27]
	v_add_f64 v[28:29], v[28:29], v[32:33]
	v_mul_f64 v[32:33], v[22:23], s[18:19]
	v_add_f64 v[30:31], v[30:31], v[34:35]
	v_fma_f64 v[34:35], s[22:23], v[26:27], v[32:33]
	v_fmac_f64_e32 v[32:33], s[20:21], v[26:27]
	v_add_f64 v[32:33], v[32:33], v[36:37]
	v_mul_f64 v[36:37], v[22:23], s[6:7]
	v_fma_f64 v[48:49], s[8:9], v[26:27], v[36:37]
	v_fmac_f64_e32 v[36:37], s[14:15], v[26:27]
	v_mul_f64 v[50:51], v[22:23], s[30:31]
	v_mul_f64 v[22:23], v[22:23], s[10:11]
	v_add_f64 v[36:37], v[36:37], v[54:55]
	v_fma_f64 v[54:55], s[16:17], v[26:27], v[22:23]
	v_fmac_f64_e32 v[22:23], s[12:13], v[26:27]
	v_add_f64 v[20:21], v[24:25], v[20:21]
	v_add_f64 v[4:5], v[22:23], v[4:5]
	v_add_f64 v[22:23], v[44:45], -v[46:47]
	v_mul_f64 v[24:25], v[20:21], s[30:31]
	v_add_f64 v[34:35], v[34:35], v[52:53]
	v_fma_f64 v[52:53], s[34:35], v[26:27], v[50:51]
	v_fmac_f64_e32 v[50:51], s[36:37], v[26:27]
	v_fma_f64 v[26:27], s[34:35], v[22:23], v[24:25]
	v_fmac_f64_e32 v[24:25], s[36:37], v[22:23]
	v_add_f64 v[24:25], v[24:25], v[28:29]
	v_mul_f64 v[28:29], v[20:21], s[6:7]
	v_add_f64 v[26:27], v[26:27], v[30:31]
	v_fma_f64 v[30:31], s[14:15], v[22:23], v[28:29]
	v_fmac_f64_e32 v[28:29], s[8:9], v[22:23]
	v_add_f64 v[28:29], v[28:29], v[32:33]
	v_mul_f64 v[32:33], v[20:21], s[24:25]
	v_add_f64 v[30:31], v[30:31], v[34:35]
	v_fma_f64 v[34:35], s[26:27], v[22:23], v[32:33]
	v_fmac_f64_e32 v[32:33], s[28:29], v[22:23]
	v_add_f64 v[32:33], v[32:33], v[36:37]
	v_mul_f64 v[36:37], v[20:21], s[10:11]
	v_mul_f64 v[20:21], v[20:21], s[18:19]
	v_fma_f64 v[46:47], s[20:21], v[22:23], v[20:21]
	v_fmac_f64_e32 v[20:21], s[22:23], v[22:23]
	v_add_f64 v[74:75], v[74:75], v[84:85]
	v_add_f64 v[80:81], v[80:81], v[88:89]
	;; [unrolled: 1-line block ×5, first 2 shown]
	v_mul_u32_u24_e32 v20, 0xb0, v38
	v_add_f64 v[56:57], v[56:57], v[74:75]
	v_add_f64 v[60:61], v[60:61], v[80:81]
	;; [unrolled: 1-line block ×4, first 2 shown]
	v_or_b32_e32 v20, v20, v67
	v_add_f64 v[48:49], v[48:49], v[56:57]
	v_add_f64 v[52:53], v[52:53], v[60:61]
	;; [unrolled: 1-line block ×4, first 2 shown]
	v_fma_f64 v[44:45], s[16:17], v[22:23], v[36:37]
	v_fmac_f64_e32 v[36:37], s[12:13], v[22:23]
	v_lshl_add_u32 v20, v20, 3, 0
	v_add_f64 v[34:35], v[34:35], v[48:49]
	v_add_f64 v[44:45], v[44:45], v[52:53]
	;; [unrolled: 1-line block ×4, first 2 shown]
	ds_write2_b64 v20, v[42:43], v[26:27] offset1:16
	ds_write2_b64 v20, v[30:31], v[34:35] offset0:32 offset1:48
	ds_write2_b64 v20, v[44:45], v[46:47] offset0:64 offset1:80
	;; [unrolled: 1-line block ×4, first 2 shown]
	ds_write_b64 v20, v[24:25] offset:1280
.LBB0_41:
	s_or_b64 exec, exec, s[2:3]
	s_mov_b32 s2, 0xba2f
	v_mov_b32_e32 v67, 0
	v_mul_u32_u24_sdwa v4, v78, s2 dst_sel:DWORD dst_unused:UNUSED_PAD src0_sel:WORD_0 src1_sel:DWORD
	v_lshl_add_u64 v[20:21], v[66:67], 4, s[4:5]
	v_lshrrev_b32_e32 v4, 23, v4
	s_waitcnt lgkmcnt(0)
	s_barrier
	global_load_dwordx4 v[22:25], v[20:21], off offset:2752
	global_load_dwordx4 v[26:29], v[20:21], off offset:2768
	v_mul_lo_u16_e32 v4, 0xb0, v4
	v_sub_u16_e32 v38, v78, v4
	v_lshlrev_b32_e32 v4, 5, v38
	global_load_dwordx4 v[30:33], v4, s[4:5] offset:2752
	global_load_dwordx4 v[34:37], v4, s[4:5] offset:2768
	ds_read2_b64 v[42:45], v65 offset1:176
	ds_read2_b64 v[46:49], v39 offset0:32 offset1:208
	ds_read2_b64 v[50:53], v41 offset0:32 offset1:208
	;; [unrolled: 1-line block ×3, first 2 shown]
	ds_read_b64 v[4:5], v65 offset:11264
	s_mov_b32 s2, 0xe8584caa
	s_mov_b32 s3, 0xbfebb67a
	;; [unrolled: 1-line block ×4, first 2 shown]
	s_waitcnt lgkmcnt(0)
	s_barrier
	s_waitcnt vmcnt(3)
	v_mul_f64 v[58:59], v[48:49], v[24:25]
	v_mul_f64 v[60:61], v[2:3], v[24:25]
	s_waitcnt vmcnt(2)
	v_mul_f64 v[72:73], v[50:51], v[28:29]
	v_mul_f64 v[74:75], v[14:15], v[28:29]
	v_mul_f64 v[76:77], v[54:55], v[24:25]
	v_mul_f64 v[24:25], v[10:11], v[24:25]
	v_mul_f64 v[80:81], v[52:53], v[28:29]
	v_mul_f64 v[28:29], v[16:17], v[28:29]
	v_fmac_f64_e32 v[58:59], v[2:3], v[22:23]
	v_fma_f64 v[2:3], v[48:49], v[22:23], -v[60:61]
	v_fmac_f64_e32 v[72:73], v[14:15], v[26:27]
	v_fma_f64 v[14:15], v[50:51], v[26:27], -v[74:75]
	v_fmac_f64_e32 v[76:77], v[10:11], v[22:23]
	v_fma_f64 v[10:11], v[54:55], v[22:23], -v[24:25]
	v_fmac_f64_e32 v[80:81], v[16:17], v[26:27]
	v_fma_f64 v[16:17], v[52:53], v[26:27], -v[28:29]
	v_add_f64 v[22:23], v[6:7], v[58:59]
	v_add_f64 v[24:25], v[58:59], v[72:73]
	v_add_f64 v[26:27], v[2:3], -v[14:15]
	v_add_f64 v[28:29], v[42:43], v[2:3]
	v_add_f64 v[2:3], v[2:3], v[14:15]
	v_add_f64 v[48:49], v[58:59], -v[72:73]
	v_add_f64 v[54:55], v[10:11], -v[16:17]
	v_add_f64 v[58:59], v[44:45], v[10:11]
	v_add_f64 v[10:11], v[10:11], v[16:17]
	v_fma_f64 v[6:7], -0.5, v[24:25], v[6:7]
	v_add_f64 v[24:25], v[28:29], v[14:15]
	v_fma_f64 v[28:29], -0.5, v[2:3], v[42:43]
	v_add_f64 v[42:43], v[58:59], v[16:17]
	v_fmac_f64_e32 v[44:45], -0.5, v[10:11]
	s_waitcnt vmcnt(1)
	v_mul_f64 v[10:11], v[56:57], v[32:33]
	s_waitcnt vmcnt(0)
	v_mul_f64 v[16:17], v[4:5], v[36:37]
	v_add_f64 v[52:53], v[76:77], v[80:81]
	v_mul_f64 v[14:15], v[12:13], v[32:33]
	v_mul_f64 v[32:33], v[18:19], v[36:37]
	v_fmac_f64_e32 v[10:11], v[12:13], v[30:31]
	v_fmac_f64_e32 v[16:17], v[18:19], v[34:35]
	v_add_f64 v[50:51], v[8:9], v[76:77]
	v_add_f64 v[22:23], v[22:23], v[72:73]
	v_fmac_f64_e32 v[8:9], -0.5, v[52:53]
	v_fma_f64 v[36:37], s[2:3], v[26:27], v[6:7]
	v_fma_f64 v[12:13], v[56:57], v[30:31], -v[14:15]
	v_fma_f64 v[4:5], v[4:5], v[34:35], -v[32:33]
	v_add_f64 v[18:19], v[10:11], v[16:17]
	v_add_f64 v[2:3], v[50:51], v[80:81]
	v_fmac_f64_e32 v[6:7], s[6:7], v[26:27]
	v_fma_f64 v[26:27], s[6:7], v[48:49], v[28:29]
	v_fmac_f64_e32 v[28:29], s[2:3], v[48:49]
	v_fma_f64 v[48:49], s[2:3], v[54:55], v[8:9]
	v_fmac_f64_e32 v[8:9], s[6:7], v[54:55]
	v_add_f64 v[14:15], v[0:1], v[10:11]
	v_add_f64 v[30:31], v[12:13], -v[4:5]
	v_add_f64 v[32:33], v[46:47], v[12:13]
	v_add_f64 v[12:13], v[12:13], v[4:5]
	v_fmac_f64_e32 v[0:1], -0.5, v[18:19]
	ds_write2_b64 v65, v[22:23], v[36:37] offset1:176
	ds_write2_b64 v39, v[6:7], v[2:3] offset0:32 offset1:208
	ds_write2_b64 v40, v[48:49], v[8:9] offset0:64 offset1:240
	v_lshl_add_u32 v22, v38, 3, 0
	v_add_f64 v[10:11], v[10:11], -v[16:17]
	v_add_f64 v[14:15], v[14:15], v[16:17]
	v_add_f64 v[18:19], v[32:33], v[4:5]
	v_fmac_f64_e32 v[46:47], -0.5, v[12:13]
	v_fma_f64 v[4:5], s[2:3], v[30:31], v[0:1]
	v_fmac_f64_e32 v[0:1], s[6:7], v[30:31]
	v_add_u32_e32 v23, 0x2000, v22
	v_fma_f64 v[30:31], s[6:7], v[10:11], v[46:47]
	v_fmac_f64_e32 v[46:47], s[2:3], v[10:11]
	ds_write2_b64 v23, v[14:15], v[4:5] offset0:32 offset1:208
	ds_write_b64 v22, v[0:1] offset:11264
	s_waitcnt lgkmcnt(0)
	s_barrier
	ds_read2_b64 v[0:3], v65 offset1:176
	ds_read2_b64 v[8:11], v39 offset0:32 offset1:208
	ds_read2_b64 v[4:7], v41 offset0:32 offset1:208
	;; [unrolled: 1-line block ×3, first 2 shown]
	ds_read_b64 v[16:17], v65 offset:11264
	v_add_f64 v[60:61], v[76:77], -v[80:81]
	v_fma_f64 v[50:51], s[6:7], v[60:61], v[44:45]
	v_fmac_f64_e32 v[44:45], s[2:3], v[60:61]
	s_waitcnt lgkmcnt(0)
	s_barrier
	ds_write2_b64 v65, v[24:25], v[26:27] offset1:176
	ds_write2_b64 v39, v[28:29], v[42:43] offset0:32 offset1:208
	ds_write2_b64 v40, v[50:51], v[44:45] offset0:64 offset1:240
	;; [unrolled: 1-line block ×3, first 2 shown]
	ds_write_b64 v22, v[46:47] offset:11264
	s_waitcnt lgkmcnt(0)
	s_barrier
	s_and_saveexec_b64 s[8:9], s[0:1]
	s_cbranch_execz .LBB0_43
; %bb.42:
	s_movk_i32 s8, 0x2000
	v_mov_b32_e32 v69, v67
	v_add_co_u32_e32 v30, vcc, s8, v20
	v_lshl_add_u64 v[26:27], v[68:69], 4, s[4:5]
	s_nop 0
	v_addc_co_u32_e32 v31, vcc, 0, v21, vcc
	v_mov_b32_e32 v71, v67
	v_add_co_u32_e32 v38, vcc, s8, v26
	v_lshl_add_u64 v[34:35], v[70:71], 4, s[4:5]
	s_nop 0
	v_addc_co_u32_e32 v39, vcc, 0, v27, vcc
	s_mov_b64 s[0:1], 0x20c0
	v_add_co_u32_e32 v44, vcc, 0x2000, v34
	v_lshl_add_u64 v[36:37], v[26:27], 0, s[0:1]
	v_lshl_add_u64 v[28:29], v[20:21], 0, s[0:1]
	v_addc_co_u32_e32 v45, vcc, 0, v35, vcc
	v_lshl_add_u64 v[42:43], v[34:35], 0, s[0:1]
	global_load_dwordx4 v[18:21], v[30:31], off offset:192
	global_load_dwordx4 v[22:25], v[28:29], off offset:16
	s_nop 0
	global_load_dwordx4 v[26:29], v[38:39], off offset:192
	global_load_dwordx4 v[30:33], v[36:37], off offset:16
	s_nop 0
	global_load_dwordx4 v[34:37], v[44:45], off offset:192
	global_load_dwordx4 v[38:41], v[42:43], off offset:16
	v_add_u32_e32 v46, 0xa00, v65
	v_add_u32_e32 v50, 0x1400, v65
	;; [unrolled: 1-line block ×3, first 2 shown]
	ds_read_b64 v[58:59], v65 offset:11264
	ds_read2_b64 v[42:45], v65 offset1:176
	ds_read2_b64 v[46:49], v46 offset0:32 offset1:208
	ds_read2_b64 v[50:53], v50 offset0:64 offset1:240
	;; [unrolled: 1-line block ×3, first 2 shown]
	v_mov_b32_e32 v65, v67
	s_movk_i32 s0, 0x4000
	s_waitcnt vmcnt(5)
	v_mul_f64 v[60:61], v[10:11], v[20:21]
	s_waitcnt lgkmcnt(2)
	v_mul_f64 v[70:71], v[48:49], v[20:21]
	s_waitcnt vmcnt(3)
	v_mul_f64 v[20:21], v[12:13], v[28:29]
	s_waitcnt vmcnt(2)
	v_mul_f64 v[72:73], v[6:7], v[32:33]
	s_waitcnt lgkmcnt(1)
	v_mul_f64 v[28:29], v[50:51], v[28:29]
	s_waitcnt lgkmcnt(0)
	v_mul_f64 v[32:33], v[56:57], v[32:33]
	v_fma_f64 v[48:49], v[48:49], v[18:19], -v[60:61]
	v_fmac_f64_e32 v[70:71], v[10:11], v[18:19]
	s_waitcnt vmcnt(1)
	v_mul_f64 v[10:11], v[14:15], v[36:37]
	s_waitcnt vmcnt(0)
	v_mul_f64 v[18:19], v[16:17], v[40:41]
	v_mul_f64 v[36:37], v[52:53], v[36:37]
	;; [unrolled: 1-line block ×3, first 2 shown]
	v_fma_f64 v[20:21], v[50:51], v[26:27], -v[20:21]
	v_fma_f64 v[50:51], v[56:57], v[30:31], -v[72:73]
	v_fmac_f64_e32 v[28:29], v[12:13], v[26:27]
	v_fmac_f64_e32 v[32:33], v[6:7], v[30:31]
	v_fma_f64 v[10:11], v[52:53], v[34:35], -v[10:11]
	v_fma_f64 v[18:19], v[58:59], v[38:39], -v[18:19]
	v_fmac_f64_e32 v[36:37], v[14:15], v[34:35]
	v_fmac_f64_e32 v[40:41], v[16:17], v[38:39]
	v_mul_f64 v[68:69], v[4:5], v[24:25]
	v_add_f64 v[12:13], v[20:21], v[50:51]
	v_add_f64 v[30:31], v[28:29], -v[32:33]
	v_add_f64 v[14:15], v[44:45], v[20:21]
	v_add_f64 v[34:35], v[20:21], -v[50:51]
	v_add_f64 v[20:21], v[28:29], v[32:33]
	v_add_f64 v[26:27], v[2:3], v[28:29]
	;; [unrolled: 1-line block ×5, first 2 shown]
	v_fma_f64 v[60:61], v[54:55], v[22:23], -v[68:69]
	v_add_f64 v[38:39], v[36:37], -v[40:41]
	v_add_f64 v[56:57], v[10:11], -v[18:19]
	v_add_f64 v[36:37], v[8:9], v[36:37]
	v_fma_f64 v[10:11], -0.5, v[20:21], v[2:3]
	v_fma_f64 v[20:21], -0.5, v[28:29], v[46:47]
	v_add_f64 v[28:29], v[52:53], v[18:19]
	v_fma_f64 v[18:19], -0.5, v[58:59], v[8:9]
	v_mul_f64 v[8:9], v[54:55], v[24:25]
	v_add_f64 v[6:7], v[48:49], v[60:61]
	v_fmac_f64_e32 v[8:9], v[4:5], v[22:23]
	v_fma_f64 v[6:7], -0.5, v[6:7], v[42:43]
	v_add_f64 v[2:3], v[70:71], -v[8:9]
	v_add_f64 v[4:5], v[70:71], v[8:9]
	v_fma_f64 v[24:25], s[2:3], v[2:3], v[6:7]
	v_fmac_f64_e32 v[6:7], s[6:7], v[2:3]
	v_add_f64 v[2:3], v[42:43], v[48:49]
	v_fma_f64 v[4:5], -0.5, v[4:5], v[0:1]
	v_add_f64 v[0:1], v[0:1], v[70:71]
	v_add_f64 v[2:3], v[2:3], v[60:61]
	;; [unrolled: 1-line block ×3, first 2 shown]
	v_lshl_add_u64 v[8:9], v[64:65], 4, v[62:63]
	global_store_dwordx4 v[8:9], v[0:3], off
	v_add_f64 v[16:17], v[14:15], v[50:51]
	v_add_f64 v[14:15], v[26:27], v[32:33]
	v_add_co_u32_e32 v0, vcc, s8, v8
	v_add_f64 v[26:27], v[36:37], v[40:41]
	s_nop 0
	v_addc_co_u32_e32 v1, vcc, 0, v9, vcc
	v_fma_f64 v[36:37], s[2:3], v[38:39], v[20:21]
	v_fmac_f64_e32 v[20:21], s[6:7], v[38:39]
	v_add_f64 v[38:39], v[48:49], -v[60:61]
	v_add_co_u32_e32 v2, vcc, s0, v8
	v_fma_f64 v[12:13], -0.5, v[12:13], v[44:45]
	v_fma_f64 v[22:23], s[6:7], v[38:39], v[4:5]
	v_fmac_f64_e32 v[4:5], s[2:3], v[38:39]
	v_addc_co_u32_e32 v3, vcc, 0, v9, vcc
	s_mov_b32 s0, 0x3e0f83e1
	v_fma_f64 v[32:33], s[2:3], v[30:31], v[12:13]
	v_fmac_f64_e32 v[12:13], s[6:7], v[30:31]
	v_fma_f64 v[30:31], s[6:7], v[34:35], v[10:11]
	v_fmac_f64_e32 v[10:11], s[2:3], v[34:35]
	global_store_dwordx4 v[0:1], v[4:7], off offset:256
	global_store_dwordx4 v[2:3], v[22:25], off offset:512
	;; [unrolled: 1-line block ×5, first 2 shown]
	v_mul_hi_u32 v0, v78, s0
	v_lshrrev_b32_e32 v0, 7, v0
	s_movk_i32 s0, 0x420
	v_mad_u32_u24 v66, v0, s0, v78
	v_lshl_add_u64 v[0:1], v[66:67], 4, v[62:63]
	v_add_co_u32_e32 v2, vcc, 0x2000, v0
	global_store_dwordx4 v[0:1], v[26:29], off
	s_nop 0
	v_addc_co_u32_e32 v3, vcc, 0, v1, vcc
	v_add_co_u32_e32 v0, vcc, 0x4000, v0
	v_fma_f64 v[34:35], s[6:7], v[56:57], v[18:19]
	v_fmac_f64_e32 v[18:19], s[2:3], v[56:57]
	v_addc_co_u32_e32 v1, vcc, 0, v1, vcc
	global_store_dwordx4 v[2:3], v[18:21], off offset:256
	global_store_dwordx4 v[0:1], v[34:37], off offset:512
.LBB0_43:
	s_endpgm
	.section	.rodata,"a",@progbits
	.p2align	6, 0x0
	.amdhsa_kernel fft_rtc_back_len1584_factors_4_2_2_11_3_3_wgs_176_tpt_176_halfLds_dp_ip_CI_unitstride_sbrr_dirReg
		.amdhsa_group_segment_fixed_size 0
		.amdhsa_private_segment_fixed_size 0
		.amdhsa_kernarg_size 88
		.amdhsa_user_sgpr_count 2
		.amdhsa_user_sgpr_dispatch_ptr 0
		.amdhsa_user_sgpr_queue_ptr 0
		.amdhsa_user_sgpr_kernarg_segment_ptr 1
		.amdhsa_user_sgpr_dispatch_id 0
		.amdhsa_user_sgpr_kernarg_preload_length 0
		.amdhsa_user_sgpr_kernarg_preload_offset 0
		.amdhsa_user_sgpr_private_segment_size 0
		.amdhsa_uses_dynamic_stack 0
		.amdhsa_enable_private_segment 0
		.amdhsa_system_sgpr_workgroup_id_x 1
		.amdhsa_system_sgpr_workgroup_id_y 0
		.amdhsa_system_sgpr_workgroup_id_z 0
		.amdhsa_system_sgpr_workgroup_info 0
		.amdhsa_system_vgpr_workitem_id 0
		.amdhsa_next_free_vgpr 116
		.amdhsa_next_free_sgpr 38
		.amdhsa_accum_offset 116
		.amdhsa_reserve_vcc 1
		.amdhsa_float_round_mode_32 0
		.amdhsa_float_round_mode_16_64 0
		.amdhsa_float_denorm_mode_32 3
		.amdhsa_float_denorm_mode_16_64 3
		.amdhsa_dx10_clamp 1
		.amdhsa_ieee_mode 1
		.amdhsa_fp16_overflow 0
		.amdhsa_tg_split 0
		.amdhsa_exception_fp_ieee_invalid_op 0
		.amdhsa_exception_fp_denorm_src 0
		.amdhsa_exception_fp_ieee_div_zero 0
		.amdhsa_exception_fp_ieee_overflow 0
		.amdhsa_exception_fp_ieee_underflow 0
		.amdhsa_exception_fp_ieee_inexact 0
		.amdhsa_exception_int_div_zero 0
	.end_amdhsa_kernel
	.text
.Lfunc_end0:
	.size	fft_rtc_back_len1584_factors_4_2_2_11_3_3_wgs_176_tpt_176_halfLds_dp_ip_CI_unitstride_sbrr_dirReg, .Lfunc_end0-fft_rtc_back_len1584_factors_4_2_2_11_3_3_wgs_176_tpt_176_halfLds_dp_ip_CI_unitstride_sbrr_dirReg
                                        ; -- End function
	.section	.AMDGPU.csdata,"",@progbits
; Kernel info:
; codeLenInByte = 8692
; NumSgprs: 44
; NumVgprs: 116
; NumAgprs: 0
; TotalNumVgprs: 116
; ScratchSize: 0
; MemoryBound: 1
; FloatMode: 240
; IeeeMode: 1
; LDSByteSize: 0 bytes/workgroup (compile time only)
; SGPRBlocks: 5
; VGPRBlocks: 14
; NumSGPRsForWavesPerEU: 44
; NumVGPRsForWavesPerEU: 116
; AccumOffset: 116
; Occupancy: 4
; WaveLimiterHint : 1
; COMPUTE_PGM_RSRC2:SCRATCH_EN: 0
; COMPUTE_PGM_RSRC2:USER_SGPR: 2
; COMPUTE_PGM_RSRC2:TRAP_HANDLER: 0
; COMPUTE_PGM_RSRC2:TGID_X_EN: 1
; COMPUTE_PGM_RSRC2:TGID_Y_EN: 0
; COMPUTE_PGM_RSRC2:TGID_Z_EN: 0
; COMPUTE_PGM_RSRC2:TIDIG_COMP_CNT: 0
; COMPUTE_PGM_RSRC3_GFX90A:ACCUM_OFFSET: 28
; COMPUTE_PGM_RSRC3_GFX90A:TG_SPLIT: 0
	.text
	.p2alignl 6, 3212836864
	.fill 256, 4, 3212836864
	.type	__hip_cuid_c131e1229633cb5d,@object ; @__hip_cuid_c131e1229633cb5d
	.section	.bss,"aw",@nobits
	.globl	__hip_cuid_c131e1229633cb5d
__hip_cuid_c131e1229633cb5d:
	.byte	0                               ; 0x0
	.size	__hip_cuid_c131e1229633cb5d, 1

	.ident	"AMD clang version 19.0.0git (https://github.com/RadeonOpenCompute/llvm-project roc-6.4.0 25133 c7fe45cf4b819c5991fe208aaa96edf142730f1d)"
	.section	".note.GNU-stack","",@progbits
	.addrsig
	.addrsig_sym __hip_cuid_c131e1229633cb5d
	.amdgpu_metadata
---
amdhsa.kernels:
  - .agpr_count:     0
    .args:
      - .actual_access:  read_only
        .address_space:  global
        .offset:         0
        .size:           8
        .value_kind:     global_buffer
      - .offset:         8
        .size:           8
        .value_kind:     by_value
      - .actual_access:  read_only
        .address_space:  global
        .offset:         16
        .size:           8
        .value_kind:     global_buffer
      - .actual_access:  read_only
        .address_space:  global
        .offset:         24
        .size:           8
        .value_kind:     global_buffer
      - .offset:         32
        .size:           8
        .value_kind:     by_value
      - .actual_access:  read_only
        .address_space:  global
        .offset:         40
        .size:           8
        .value_kind:     global_buffer
      - .actual_access:  read_only
        .address_space:  global
        .offset:         48
        .size:           8
        .value_kind:     global_buffer
      - .offset:         56
        .size:           4
        .value_kind:     by_value
      - .actual_access:  read_only
        .address_space:  global
        .offset:         64
        .size:           8
        .value_kind:     global_buffer
      - .actual_access:  read_only
        .address_space:  global
        .offset:         72
        .size:           8
        .value_kind:     global_buffer
      - .address_space:  global
        .offset:         80
        .size:           8
        .value_kind:     global_buffer
    .group_segment_fixed_size: 0
    .kernarg_segment_align: 8
    .kernarg_segment_size: 88
    .language:       OpenCL C
    .language_version:
      - 2
      - 0
    .max_flat_workgroup_size: 176
    .name:           fft_rtc_back_len1584_factors_4_2_2_11_3_3_wgs_176_tpt_176_halfLds_dp_ip_CI_unitstride_sbrr_dirReg
    .private_segment_fixed_size: 0
    .sgpr_count:     44
    .sgpr_spill_count: 0
    .symbol:         fft_rtc_back_len1584_factors_4_2_2_11_3_3_wgs_176_tpt_176_halfLds_dp_ip_CI_unitstride_sbrr_dirReg.kd
    .uniform_work_group_size: 1
    .uses_dynamic_stack: false
    .vgpr_count:     116
    .vgpr_spill_count: 0
    .wavefront_size: 64
amdhsa.target:   amdgcn-amd-amdhsa--gfx950
amdhsa.version:
  - 1
  - 2
...

	.end_amdgpu_metadata
